;; amdgpu-corpus repo=ROCm/rocFFT kind=compiled arch=gfx906 opt=O3
	.text
	.amdgcn_target "amdgcn-amd-amdhsa--gfx906"
	.amdhsa_code_object_version 6
	.protected	fft_rtc_back_len1120_factors_2_2_2_2_2_5_7_wgs_224_tpt_224_halfLds_dp_ip_CI_unitstride_sbrr_R2C_dirReg ; -- Begin function fft_rtc_back_len1120_factors_2_2_2_2_2_5_7_wgs_224_tpt_224_halfLds_dp_ip_CI_unitstride_sbrr_R2C_dirReg
	.globl	fft_rtc_back_len1120_factors_2_2_2_2_2_5_7_wgs_224_tpt_224_halfLds_dp_ip_CI_unitstride_sbrr_R2C_dirReg
	.p2align	8
	.type	fft_rtc_back_len1120_factors_2_2_2_2_2_5_7_wgs_224_tpt_224_halfLds_dp_ip_CI_unitstride_sbrr_R2C_dirReg,@function
fft_rtc_back_len1120_factors_2_2_2_2_2_5_7_wgs_224_tpt_224_halfLds_dp_ip_CI_unitstride_sbrr_R2C_dirReg: ; @fft_rtc_back_len1120_factors_2_2_2_2_2_5_7_wgs_224_tpt_224_halfLds_dp_ip_CI_unitstride_sbrr_R2C_dirReg
; %bb.0:
	s_load_dwordx2 s[12:13], s[4:5], 0x50
	s_load_dwordx4 s[8:11], s[4:5], 0x0
	s_load_dwordx2 s[2:3], s[4:5], 0x18
	v_mul_u32_u24_e32 v1, 0x125, v0
	v_add_u32_sdwa v5, s6, v1 dst_sel:DWORD dst_unused:UNUSED_PAD src0_sel:DWORD src1_sel:WORD_1
	v_mov_b32_e32 v3, 0
	s_waitcnt lgkmcnt(0)
	v_cmp_lt_u64_e64 s[0:1], s[10:11], 2
	v_mov_b32_e32 v1, 0
	v_mov_b32_e32 v6, v3
	s_and_b64 vcc, exec, s[0:1]
	v_mov_b32_e32 v2, 0
	s_cbranch_vccnz .LBB0_8
; %bb.1:
	s_load_dwordx2 s[0:1], s[4:5], 0x10
	s_add_u32 s6, s2, 8
	s_addc_u32 s7, s3, 0
	v_mov_b32_e32 v1, 0
	v_mov_b32_e32 v2, 0
	s_waitcnt lgkmcnt(0)
	s_add_u32 s14, s0, 8
	s_addc_u32 s15, s1, 0
	s_mov_b64 s[16:17], 1
.LBB0_2:                                ; =>This Inner Loop Header: Depth=1
	s_load_dwordx2 s[18:19], s[14:15], 0x0
                                        ; implicit-def: $vgpr7_vgpr8
	s_waitcnt lgkmcnt(0)
	v_or_b32_e32 v4, s19, v6
	v_cmp_ne_u64_e32 vcc, 0, v[3:4]
	s_and_saveexec_b64 s[0:1], vcc
	s_xor_b64 s[20:21], exec, s[0:1]
	s_cbranch_execz .LBB0_4
; %bb.3:                                ;   in Loop: Header=BB0_2 Depth=1
	v_cvt_f32_u32_e32 v4, s18
	v_cvt_f32_u32_e32 v7, s19
	s_sub_u32 s0, 0, s18
	s_subb_u32 s1, 0, s19
	v_mac_f32_e32 v4, 0x4f800000, v7
	v_rcp_f32_e32 v4, v4
	v_mul_f32_e32 v4, 0x5f7ffffc, v4
	v_mul_f32_e32 v7, 0x2f800000, v4
	v_trunc_f32_e32 v7, v7
	v_mac_f32_e32 v4, 0xcf800000, v7
	v_cvt_u32_f32_e32 v7, v7
	v_cvt_u32_f32_e32 v4, v4
	v_mul_lo_u32 v8, s0, v7
	v_mul_hi_u32 v9, s0, v4
	v_mul_lo_u32 v11, s1, v4
	v_mul_lo_u32 v10, s0, v4
	v_add_u32_e32 v8, v9, v8
	v_add_u32_e32 v8, v8, v11
	v_mul_hi_u32 v9, v4, v10
	v_mul_lo_u32 v11, v4, v8
	v_mul_hi_u32 v13, v4, v8
	v_mul_hi_u32 v12, v7, v10
	v_mul_lo_u32 v10, v7, v10
	v_mul_hi_u32 v14, v7, v8
	v_add_co_u32_e32 v9, vcc, v9, v11
	v_addc_co_u32_e32 v11, vcc, 0, v13, vcc
	v_mul_lo_u32 v8, v7, v8
	v_add_co_u32_e32 v9, vcc, v9, v10
	v_addc_co_u32_e32 v9, vcc, v11, v12, vcc
	v_addc_co_u32_e32 v10, vcc, 0, v14, vcc
	v_add_co_u32_e32 v8, vcc, v9, v8
	v_addc_co_u32_e32 v9, vcc, 0, v10, vcc
	v_add_co_u32_e32 v4, vcc, v4, v8
	v_addc_co_u32_e32 v7, vcc, v7, v9, vcc
	v_mul_lo_u32 v8, s0, v7
	v_mul_hi_u32 v9, s0, v4
	v_mul_lo_u32 v10, s1, v4
	v_mul_lo_u32 v11, s0, v4
	v_add_u32_e32 v8, v9, v8
	v_add_u32_e32 v8, v8, v10
	v_mul_lo_u32 v12, v4, v8
	v_mul_hi_u32 v13, v4, v11
	v_mul_hi_u32 v14, v4, v8
	;; [unrolled: 1-line block ×3, first 2 shown]
	v_mul_lo_u32 v11, v7, v11
	v_mul_hi_u32 v9, v7, v8
	v_add_co_u32_e32 v12, vcc, v13, v12
	v_addc_co_u32_e32 v13, vcc, 0, v14, vcc
	v_mul_lo_u32 v8, v7, v8
	v_add_co_u32_e32 v11, vcc, v12, v11
	v_addc_co_u32_e32 v10, vcc, v13, v10, vcc
	v_addc_co_u32_e32 v9, vcc, 0, v9, vcc
	v_add_co_u32_e32 v8, vcc, v10, v8
	v_addc_co_u32_e32 v9, vcc, 0, v9, vcc
	v_add_co_u32_e32 v4, vcc, v4, v8
	v_addc_co_u32_e32 v9, vcc, v7, v9, vcc
	v_mad_u64_u32 v[7:8], s[0:1], v5, v9, 0
	v_mul_hi_u32 v10, v5, v4
	v_add_co_u32_e32 v11, vcc, v10, v7
	v_addc_co_u32_e32 v12, vcc, 0, v8, vcc
	v_mad_u64_u32 v[7:8], s[0:1], v6, v4, 0
	v_mad_u64_u32 v[9:10], s[0:1], v6, v9, 0
	v_add_co_u32_e32 v4, vcc, v11, v7
	v_addc_co_u32_e32 v4, vcc, v12, v8, vcc
	v_addc_co_u32_e32 v7, vcc, 0, v10, vcc
	v_add_co_u32_e32 v4, vcc, v4, v9
	v_addc_co_u32_e32 v9, vcc, 0, v7, vcc
	v_mul_lo_u32 v10, s19, v4
	v_mul_lo_u32 v11, s18, v9
	v_mad_u64_u32 v[7:8], s[0:1], s18, v4, 0
	v_add3_u32 v8, v8, v11, v10
	v_sub_u32_e32 v10, v6, v8
	v_mov_b32_e32 v11, s19
	v_sub_co_u32_e32 v7, vcc, v5, v7
	v_subb_co_u32_e64 v10, s[0:1], v10, v11, vcc
	v_subrev_co_u32_e64 v11, s[0:1], s18, v7
	v_subbrev_co_u32_e64 v10, s[0:1], 0, v10, s[0:1]
	v_cmp_le_u32_e64 s[0:1], s19, v10
	v_cndmask_b32_e64 v12, 0, -1, s[0:1]
	v_cmp_le_u32_e64 s[0:1], s18, v11
	v_cndmask_b32_e64 v11, 0, -1, s[0:1]
	v_cmp_eq_u32_e64 s[0:1], s19, v10
	v_cndmask_b32_e64 v10, v12, v11, s[0:1]
	v_add_co_u32_e64 v11, s[0:1], 2, v4
	v_addc_co_u32_e64 v12, s[0:1], 0, v9, s[0:1]
	v_add_co_u32_e64 v13, s[0:1], 1, v4
	v_addc_co_u32_e64 v14, s[0:1], 0, v9, s[0:1]
	v_subb_co_u32_e32 v8, vcc, v6, v8, vcc
	v_cmp_ne_u32_e64 s[0:1], 0, v10
	v_cmp_le_u32_e32 vcc, s19, v8
	v_cndmask_b32_e64 v10, v14, v12, s[0:1]
	v_cndmask_b32_e64 v12, 0, -1, vcc
	v_cmp_le_u32_e32 vcc, s18, v7
	v_cndmask_b32_e64 v7, 0, -1, vcc
	v_cmp_eq_u32_e32 vcc, s19, v8
	v_cndmask_b32_e32 v7, v12, v7, vcc
	v_cmp_ne_u32_e32 vcc, 0, v7
	v_cndmask_b32_e64 v7, v13, v11, s[0:1]
	v_cndmask_b32_e32 v8, v9, v10, vcc
	v_cndmask_b32_e32 v7, v4, v7, vcc
.LBB0_4:                                ;   in Loop: Header=BB0_2 Depth=1
	s_andn2_saveexec_b64 s[0:1], s[20:21]
	s_cbranch_execz .LBB0_6
; %bb.5:                                ;   in Loop: Header=BB0_2 Depth=1
	v_cvt_f32_u32_e32 v4, s18
	s_sub_i32 s20, 0, s18
	v_rcp_iflag_f32_e32 v4, v4
	v_mul_f32_e32 v4, 0x4f7ffffe, v4
	v_cvt_u32_f32_e32 v4, v4
	v_mul_lo_u32 v7, s20, v4
	v_mul_hi_u32 v7, v4, v7
	v_add_u32_e32 v4, v4, v7
	v_mul_hi_u32 v4, v5, v4
	v_mul_lo_u32 v7, v4, s18
	v_add_u32_e32 v8, 1, v4
	v_sub_u32_e32 v7, v5, v7
	v_subrev_u32_e32 v9, s18, v7
	v_cmp_le_u32_e32 vcc, s18, v7
	v_cndmask_b32_e32 v7, v7, v9, vcc
	v_cndmask_b32_e32 v4, v4, v8, vcc
	v_add_u32_e32 v8, 1, v4
	v_cmp_le_u32_e32 vcc, s18, v7
	v_cndmask_b32_e32 v7, v4, v8, vcc
	v_mov_b32_e32 v8, v3
.LBB0_6:                                ;   in Loop: Header=BB0_2 Depth=1
	s_or_b64 exec, exec, s[0:1]
	v_mul_lo_u32 v4, v8, s18
	v_mul_lo_u32 v11, v7, s19
	v_mad_u64_u32 v[9:10], s[0:1], v7, s18, 0
	s_load_dwordx2 s[0:1], s[6:7], 0x0
	s_add_u32 s16, s16, 1
	v_add3_u32 v4, v10, v11, v4
	v_sub_co_u32_e32 v5, vcc, v5, v9
	v_subb_co_u32_e32 v4, vcc, v6, v4, vcc
	s_waitcnt lgkmcnt(0)
	v_mul_lo_u32 v4, s0, v4
	v_mul_lo_u32 v6, s1, v5
	v_mad_u64_u32 v[1:2], s[0:1], s0, v5, v[1:2]
	s_addc_u32 s17, s17, 0
	s_add_u32 s6, s6, 8
	v_add3_u32 v2, v6, v2, v4
	v_mov_b32_e32 v4, s10
	v_mov_b32_e32 v5, s11
	s_addc_u32 s7, s7, 0
	v_cmp_ge_u64_e32 vcc, s[16:17], v[4:5]
	s_add_u32 s14, s14, 8
	s_addc_u32 s15, s15, 0
	s_cbranch_vccnz .LBB0_9
; %bb.7:                                ;   in Loop: Header=BB0_2 Depth=1
	v_mov_b32_e32 v5, v7
	v_mov_b32_e32 v6, v8
	s_branch .LBB0_2
.LBB0_8:
	v_mov_b32_e32 v8, v6
	v_mov_b32_e32 v7, v5
.LBB0_9:
	s_lshl_b64 s[0:1], s[10:11], 3
	s_add_u32 s0, s2, s0
	s_addc_u32 s1, s3, s1
	s_load_dwordx2 s[2:3], s[0:1], 0x0
	s_load_dwordx2 s[6:7], s[4:5], 0x20
                                        ; implicit-def: $vgpr33
                                        ; implicit-def: $vgpr32
	s_waitcnt lgkmcnt(0)
	v_mad_u64_u32 v[1:2], s[0:1], s2, v7, v[1:2]
	s_mov_b32 s0, 0x124924a
	v_mul_lo_u32 v3, s2, v8
	v_mul_lo_u32 v4, s3, v7
	v_mul_hi_u32 v5, v0, s0
	v_cmp_gt_u64_e64 s[0:1], s[6:7], v[7:8]
	v_cmp_le_u64_e32 vcc, s[6:7], v[7:8]
	v_add3_u32 v2, v4, v2, v3
	v_mul_u32_u24_e32 v3, 0xe0, v5
	v_sub_u32_e32 v28, v0, v3
	s_and_saveexec_b64 s[2:3], vcc
	s_xor_b64 s[2:3], exec, s[2:3]
; %bb.10:
	v_add_u32_e32 v33, 0xe0, v28
	v_add_u32_e32 v32, 0x1c0, v28
; %bb.11:
	s_or_saveexec_b64 s[2:3], s[2:3]
	v_lshlrev_b64 v[30:31], 4, v[1:2]
	s_xor_b64 exec, exec, s[2:3]
	s_cbranch_execz .LBB0_13
; %bb.12:
	v_mov_b32_e32 v29, 0
	v_mov_b32_e32 v0, s13
	v_add_co_u32_e32 v2, vcc, s12, v30
	v_addc_co_u32_e32 v3, vcc, v0, v31, vcc
	v_lshlrev_b64 v[0:1], 4, v[28:29]
	s_movk_i32 s4, 0x1000
	v_add_co_u32_e32 v11, vcc, v2, v0
	v_addc_co_u32_e32 v12, vcc, v3, v1, vcc
	v_add_co_u32_e32 v8, vcc, s4, v11
	v_addc_co_u32_e32 v9, vcc, 0, v12, vcc
	;; [unrolled: 2-line block ×3, first 2 shown]
	v_add_co_u32_e32 v22, vcc, 0x3000, v11
	global_load_dwordx4 v[0:3], v[11:12], off
	global_load_dwordx4 v[4:7], v[11:12], off offset:3584
	v_addc_co_u32_e32 v23, vcc, 0, v12, vcc
	global_load_dwordx4 v[8:11], v[8:9], off offset:3072
	s_nop 0
	global_load_dwordx4 v[12:15], v[20:21], off offset:2560
	global_load_dwordx4 v[16:19], v[22:23], off offset:2048
	v_lshl_add_u32 v20, v28, 4, 0
	v_add_u32_e32 v33, 0xe0, v28
	v_add_u32_e32 v32, 0x1c0, v28
	s_waitcnt vmcnt(4)
	ds_write_b128 v20, v[0:3]
	s_waitcnt vmcnt(3)
	ds_write_b128 v20, v[4:7] offset:3584
	s_waitcnt vmcnt(2)
	ds_write_b128 v20, v[8:11] offset:7168
	;; [unrolled: 2-line block ×4, first 2 shown]
.LBB0_13:
	s_or_b64 exec, exec, s[2:3]
	v_lshlrev_b32_e32 v29, 4, v28
	v_add_u32_e32 v35, 0, v29
	s_waitcnt lgkmcnt(0)
	s_barrier
	ds_read_b128 v[0:3], v35 offset:8960
	ds_read_b128 v[4:7], v35
	ds_read_b128 v[8:11], v35 offset:3584
	ds_read_b128 v[12:15], v35 offset:7168
	s_movk_i32 s2, 0x70
	v_cmp_gt_u32_e32 vcc, s2, v28
	s_waitcnt lgkmcnt(2)
	v_add_f64 v[16:17], v[4:5], -v[0:1]
	v_add_f64 v[18:19], v[6:7], -v[2:3]
	ds_read_b128 v[0:3], v35 offset:12544
	ds_read_b128 v[20:23], v35 offset:16128
	s_waitcnt lgkmcnt(0)
	s_barrier
	v_add_f64 v[36:37], v[8:9], -v[0:1]
	v_add_f64 v[38:39], v[10:11], -v[2:3]
	v_fma_f64 v[24:25], v[4:5], 2.0, -v[16:17]
	v_fma_f64 v[26:27], v[6:7], 2.0, -v[18:19]
	v_add_f64 v[4:5], v[12:13], -v[20:21]
	v_add_f64 v[6:7], v[14:15], -v[22:23]
	v_add_u32_e32 v20, v35, v29
	ds_write_b128 v20, v[16:19] offset:16
	ds_write_b128 v20, v[24:27]
	v_fma_f64 v[8:9], v[8:9], 2.0, -v[36:37]
	v_fma_f64 v[10:11], v[10:11], 2.0, -v[38:39]
	;; [unrolled: 1-line block ×4, first 2 shown]
	v_lshl_add_u32 v27, v33, 5, 0
	ds_write_b128 v27, v[8:11]
	ds_write_b128 v27, v[36:39] offset:16
	s_and_saveexec_b64 s[2:3], vcc
	s_cbranch_execz .LBB0_15
; %bb.14:
	v_lshl_add_u32 v8, v32, 5, 0
	ds_write_b128 v8, v[0:3]
	ds_write_b128 v8, v[4:7] offset:16
.LBB0_15:
	s_or_b64 exec, exec, s[2:3]
	v_lshlrev_b32_e32 v26, 4, v33
	v_sub_u32_e32 v12, v27, v26
	s_waitcnt lgkmcnt(0)
	s_barrier
	ds_read_b128 v[8:11], v35
	ds_read_b128 v[16:19], v35 offset:8960
	ds_read_b128 v[12:15], v12
	ds_read_b128 v[20:23], v35 offset:12544
	v_lshlrev_b32_e32 v24, 1, v33
	v_lshl_add_u32 v36, v32, 4, 0
	s_and_saveexec_b64 s[2:3], vcc
	s_cbranch_execz .LBB0_17
; %bb.16:
	ds_read_b128 v[0:3], v36
	ds_read_b128 v[4:7], v35 offset:16128
.LBB0_17:
	s_or_b64 exec, exec, s[2:3]
	v_and_b32_e32 v34, 1, v28
	v_lshlrev_b32_e32 v25, 4, v34
	global_load_dwordx4 v[38:41], v25, s[8:9]
	v_lshlrev_b32_e32 v25, 1, v28
	s_movk_i32 s2, 0x1fc
	v_sub_u32_e32 v37, 0, v26
	s_movk_i32 s3, 0x3fc
	v_and_or_b32 v26, v25, s2, v34
	v_lshl_add_u32 v26, v26, 4, 0
	s_waitcnt vmcnt(0) lgkmcnt(0)
	s_barrier
	v_mul_f64 v[42:43], v[18:19], v[40:41]
	v_mul_f64 v[44:45], v[16:17], v[40:41]
	;; [unrolled: 1-line block ×6, first 2 shown]
	v_fma_f64 v[16:17], v[16:17], v[38:39], v[42:43]
	v_fma_f64 v[18:19], v[18:19], v[38:39], -v[44:45]
	v_fma_f64 v[20:21], v[20:21], v[38:39], v[46:47]
	v_fma_f64 v[22:23], v[22:23], v[38:39], -v[48:49]
	;; [unrolled: 2-line block ×3, first 2 shown]
	v_and_or_b32 v38, v24, s3, v34
	v_lshl_add_u32 v38, v38, 4, 0
	v_add_f64 v[16:17], v[8:9], -v[16:17]
	v_add_f64 v[18:19], v[10:11], -v[18:19]
	;; [unrolled: 1-line block ×6, first 2 shown]
	v_fma_f64 v[8:9], v[8:9], 2.0, -v[16:17]
	v_fma_f64 v[10:11], v[10:11], 2.0, -v[18:19]
	;; [unrolled: 1-line block ×6, first 2 shown]
	ds_write_b128 v26, v[16:19] offset:32
	ds_write_b128 v26, v[8:11]
	ds_write_b128 v38, v[12:15]
	ds_write_b128 v38, v[20:23] offset:32
	v_lshlrev_b32_e32 v26, 1, v32
	s_and_saveexec_b64 s[2:3], vcc
	s_cbranch_execz .LBB0_19
; %bb.18:
	s_movk_i32 s4, 0x7fc
	v_and_or_b32 v8, v26, s4, v34
	v_lshl_add_u32 v8, v8, 4, 0
	ds_write_b128 v8, v[0:3]
	ds_write_b128 v8, v[4:7] offset:32
.LBB0_19:
	s_or_b64 exec, exec, s[2:3]
	v_add_u32_e32 v37, v27, v37
	s_waitcnt lgkmcnt(0)
	s_barrier
	ds_read_b128 v[8:11], v35
	ds_read_b128 v[16:19], v35 offset:8960
	ds_read_b128 v[12:15], v37
	ds_read_b128 v[20:23], v35 offset:12544
	s_and_saveexec_b64 s[2:3], vcc
	s_cbranch_execz .LBB0_21
; %bb.20:
	ds_read_b128 v[0:3], v36
	ds_read_b128 v[4:7], v35 offset:16128
.LBB0_21:
	s_or_b64 exec, exec, s[2:3]
	v_and_b32_e32 v27, 3, v28
	v_lshlrev_b32_e32 v34, 4, v27
	global_load_dwordx4 v[38:41], v34, s[8:9] offset:32
	s_movk_i32 s2, 0x1f8
	s_movk_i32 s3, 0x3f8
	v_and_or_b32 v34, v25, s2, v27
	v_lshl_add_u32 v34, v34, 4, 0
	s_waitcnt vmcnt(0) lgkmcnt(0)
	s_barrier
	v_mul_f64 v[42:43], v[18:19], v[40:41]
	v_mul_f64 v[44:45], v[16:17], v[40:41]
	v_mul_f64 v[46:47], v[22:23], v[40:41]
	v_mul_f64 v[48:49], v[20:21], v[40:41]
	v_mul_f64 v[50:51], v[6:7], v[40:41]
	v_mul_f64 v[40:41], v[4:5], v[40:41]
	v_fma_f64 v[16:17], v[16:17], v[38:39], v[42:43]
	v_fma_f64 v[18:19], v[18:19], v[38:39], -v[44:45]
	v_fma_f64 v[20:21], v[20:21], v[38:39], v[46:47]
	v_fma_f64 v[22:23], v[22:23], v[38:39], -v[48:49]
	;; [unrolled: 2-line block ×3, first 2 shown]
	v_and_or_b32 v38, v24, s3, v27
	v_lshl_add_u32 v38, v38, 4, 0
	v_add_f64 v[16:17], v[8:9], -v[16:17]
	v_add_f64 v[18:19], v[10:11], -v[18:19]
	;; [unrolled: 1-line block ×6, first 2 shown]
	v_fma_f64 v[8:9], v[8:9], 2.0, -v[16:17]
	v_fma_f64 v[10:11], v[10:11], 2.0, -v[18:19]
	;; [unrolled: 1-line block ×6, first 2 shown]
	ds_write_b128 v34, v[16:19] offset:64
	ds_write_b128 v34, v[8:11]
	ds_write_b128 v38, v[12:15]
	ds_write_b128 v38, v[20:23] offset:64
	s_and_saveexec_b64 s[2:3], vcc
	s_cbranch_execz .LBB0_23
; %bb.22:
	s_movk_i32 s4, 0x7f8
	v_and_or_b32 v8, v26, s4, v27
	v_lshl_add_u32 v8, v8, 4, 0
	ds_write_b128 v8, v[0:3]
	ds_write_b128 v8, v[4:7] offset:64
.LBB0_23:
	s_or_b64 exec, exec, s[2:3]
	s_waitcnt lgkmcnt(0)
	s_barrier
	ds_read_b128 v[8:11], v35
	ds_read_b128 v[16:19], v35 offset:8960
	ds_read_b128 v[12:15], v37
	ds_read_b128 v[20:23], v35 offset:12544
	s_and_saveexec_b64 s[2:3], vcc
	s_cbranch_execz .LBB0_25
; %bb.24:
	ds_read_b128 v[0:3], v36
	ds_read_b128 v[4:7], v35 offset:16128
.LBB0_25:
	s_or_b64 exec, exec, s[2:3]
	v_and_b32_e32 v27, 7, v28
	v_lshlrev_b32_e32 v34, 4, v27
	global_load_dwordx4 v[38:41], v34, s[8:9] offset:96
	s_movk_i32 s2, 0x1f0
	s_movk_i32 s3, 0x3f0
	v_and_or_b32 v34, v25, s2, v27
	v_lshl_add_u32 v34, v34, 4, 0
	s_waitcnt vmcnt(0) lgkmcnt(0)
	s_barrier
	v_mul_f64 v[42:43], v[18:19], v[40:41]
	v_mul_f64 v[44:45], v[16:17], v[40:41]
	;; [unrolled: 1-line block ×6, first 2 shown]
	v_fma_f64 v[16:17], v[16:17], v[38:39], v[42:43]
	v_fma_f64 v[18:19], v[18:19], v[38:39], -v[44:45]
	v_fma_f64 v[20:21], v[20:21], v[38:39], v[46:47]
	v_fma_f64 v[22:23], v[22:23], v[38:39], -v[48:49]
	;; [unrolled: 2-line block ×3, first 2 shown]
	v_and_or_b32 v38, v24, s3, v27
	v_lshl_add_u32 v38, v38, 4, 0
	v_add_f64 v[16:17], v[8:9], -v[16:17]
	v_add_f64 v[18:19], v[10:11], -v[18:19]
	;; [unrolled: 1-line block ×6, first 2 shown]
	v_fma_f64 v[8:9], v[8:9], 2.0, -v[16:17]
	v_fma_f64 v[10:11], v[10:11], 2.0, -v[18:19]
	;; [unrolled: 1-line block ×6, first 2 shown]
	ds_write_b128 v34, v[16:19] offset:128
	ds_write_b128 v34, v[8:11]
	ds_write_b128 v38, v[12:15]
	ds_write_b128 v38, v[20:23] offset:128
	s_and_saveexec_b64 s[2:3], vcc
	s_cbranch_execz .LBB0_27
; %bb.26:
	s_movk_i32 s4, 0x7f0
	v_and_or_b32 v8, v26, s4, v27
	v_lshl_add_u32 v8, v8, 4, 0
	ds_write_b128 v8, v[0:3]
	ds_write_b128 v8, v[4:7] offset:128
.LBB0_27:
	s_or_b64 exec, exec, s[2:3]
	s_waitcnt lgkmcnt(0)
	s_barrier
	ds_read_b128 v[8:11], v35
	ds_read_b128 v[16:19], v35 offset:8960
	ds_read_b128 v[12:15], v37
	ds_read_b128 v[20:23], v35 offset:12544
	s_and_saveexec_b64 s[2:3], vcc
	s_cbranch_execz .LBB0_29
; %bb.28:
	ds_read_b128 v[0:3], v36
	ds_read_b128 v[4:7], v35 offset:16128
.LBB0_29:
	s_or_b64 exec, exec, s[2:3]
	v_and_b32_e32 v27, 15, v28
	v_lshlrev_b32_e32 v34, 4, v27
	global_load_dwordx4 v[38:41], v34, s[8:9] offset:224
	s_movk_i32 s2, 0x1e0
	s_movk_i32 s3, 0x3e0
	v_and_or_b32 v25, v25, s2, v27
	v_and_or_b32 v24, v24, s3, v27
	v_lshl_add_u32 v25, v25, 4, 0
	s_waitcnt vmcnt(0) lgkmcnt(0)
	s_barrier
	v_lshl_add_u32 v24, v24, 4, 0
	v_mul_f64 v[42:43], v[18:19], v[40:41]
	v_mul_f64 v[44:45], v[16:17], v[40:41]
	;; [unrolled: 1-line block ×4, first 2 shown]
	v_fma_f64 v[16:17], v[16:17], v[38:39], v[42:43]
	v_mul_f64 v[42:43], v[6:7], v[40:41]
	v_mul_f64 v[40:41], v[4:5], v[40:41]
	v_fma_f64 v[18:19], v[18:19], v[38:39], -v[44:45]
	v_fma_f64 v[20:21], v[20:21], v[38:39], v[46:47]
	v_fma_f64 v[22:23], v[22:23], v[38:39], -v[48:49]
	v_add_f64 v[16:17], v[8:9], -v[16:17]
	v_fma_f64 v[4:5], v[4:5], v[38:39], v[42:43]
	v_fma_f64 v[6:7], v[6:7], v[38:39], -v[40:41]
	v_add_f64 v[18:19], v[10:11], -v[18:19]
	v_add_f64 v[20:21], v[12:13], -v[20:21]
	;; [unrolled: 1-line block ×3, first 2 shown]
	v_fma_f64 v[8:9], v[8:9], 2.0, -v[16:17]
	v_add_f64 v[4:5], v[0:1], -v[4:5]
	v_add_f64 v[6:7], v[2:3], -v[6:7]
	v_fma_f64 v[10:11], v[10:11], 2.0, -v[18:19]
	v_fma_f64 v[12:13], v[12:13], 2.0, -v[20:21]
	;; [unrolled: 1-line block ×3, first 2 shown]
	ds_write_b128 v25, v[16:19] offset:256
	ds_write_b128 v25, v[8:11]
	ds_write_b128 v24, v[12:15]
	ds_write_b128 v24, v[20:23] offset:256
	s_and_saveexec_b64 s[2:3], vcc
	s_cbranch_execz .LBB0_31
; %bb.30:
	v_fma_f64 v[2:3], v[2:3], 2.0, -v[6:7]
	v_fma_f64 v[0:1], v[0:1], 2.0, -v[4:5]
	s_movk_i32 s4, 0x7e0
	v_and_or_b32 v8, v26, s4, v27
	v_lshl_add_u32 v8, v8, 4, 0
	ds_write_b128 v8, v[0:3]
	ds_write_b128 v8, v[4:7] offset:256
.LBB0_31:
	s_or_b64 exec, exec, s[2:3]
	v_and_b32_e32 v34, 31, v28
	v_lshlrev_b32_e32 v50, 6, v34
	s_waitcnt lgkmcnt(0)
	s_barrier
	ds_read_b128 v[12:15], v35
	ds_read_b128 v[0:3], v37
	;; [unrolled: 1-line block ×3, first 2 shown]
	ds_read_b128 v[16:19], v35 offset:10752
	ds_read_b128 v[20:23], v35 offset:14336
	global_load_dwordx4 v[24:27], v50, s[8:9] offset:528
	global_load_dwordx4 v[38:41], v50, s[8:9] offset:512
	;; [unrolled: 1-line block ×4, first 2 shown]
	s_mov_b32 s2, 0x134454ff
	s_mov_b32 s3, 0xbfee6f0e
	;; [unrolled: 1-line block ×10, first 2 shown]
	s_waitcnt vmcnt(0) lgkmcnt(0)
	s_barrier
	v_mul_f64 v[50:51], v[2:3], v[48:49]
	v_fma_f64 v[50:51], v[0:1], v[46:47], v[50:51]
	v_mul_f64 v[0:1], v[0:1], v[48:49]
	v_fma_f64 v[46:47], v[2:3], v[46:47], -v[0:1]
	v_mul_f64 v[0:1], v[10:11], v[44:45]
	v_fma_f64 v[48:49], v[8:9], v[42:43], v[0:1]
	v_mul_f64 v[0:1], v[8:9], v[44:45]
	v_fma_f64 v[42:43], v[10:11], v[42:43], -v[0:1]
	v_mul_f64 v[0:1], v[18:19], v[40:41]
	v_fma_f64 v[10:11], v[16:17], v[38:39], v[0:1]
	v_mul_f64 v[0:1], v[16:17], v[40:41]
	v_add_f64 v[16:17], v[50:51], -v[48:49]
	v_add_f64 v[2:3], v[48:49], v[10:11]
	v_fma_f64 v[38:39], v[18:19], v[38:39], -v[0:1]
	v_mul_f64 v[0:1], v[22:23], v[26:27]
	v_fma_f64 v[2:3], v[2:3], -0.5, v[12:13]
	v_fma_f64 v[18:19], v[20:21], v[24:25], v[0:1]
	v_mul_f64 v[0:1], v[20:21], v[26:27]
	v_add_f64 v[26:27], v[18:19], -v[10:11]
	v_fma_f64 v[22:23], v[22:23], v[24:25], -v[0:1]
	v_add_f64 v[24:25], v[42:43], -v[38:39]
	v_add_f64 v[0:1], v[12:13], v[50:51]
	v_add_f64 v[40:41], v[10:11], -v[18:19]
	v_add_f64 v[16:17], v[16:17], v[26:27]
	v_add_f64 v[20:21], v[46:47], -v[22:23]
	v_add_f64 v[26:27], v[48:49], -v[50:51]
	v_add_f64 v[0:1], v[0:1], v[48:49]
	v_add_f64 v[44:45], v[22:23], -v[38:39]
	v_fma_f64 v[8:9], v[20:21], s[2:3], v[2:3]
	v_fma_f64 v[2:3], v[20:21], s[10:11], v[2:3]
	v_add_f64 v[26:27], v[26:27], v[40:41]
	v_add_f64 v[0:1], v[0:1], v[10:11]
	v_add_f64 v[40:41], v[48:49], -v[10:11]
	v_fma_f64 v[8:9], v[24:25], s[4:5], v[8:9]
	v_fma_f64 v[2:3], v[24:25], s[14:15], v[2:3]
	v_add_f64 v[0:1], v[0:1], v[18:19]
	v_fma_f64 v[8:9], v[16:17], s[6:7], v[8:9]
	v_fma_f64 v[16:17], v[16:17], s[6:7], v[2:3]
	v_add_f64 v[2:3], v[50:51], v[18:19]
	v_fma_f64 v[2:3], v[2:3], -0.5, v[12:13]
	v_fma_f64 v[12:13], v[24:25], s[10:11], v[2:3]
	v_fma_f64 v[2:3], v[24:25], s[2:3], v[2:3]
	v_add_f64 v[24:25], v[42:43], v[38:39]
	v_fma_f64 v[12:13], v[20:21], s[4:5], v[12:13]
	v_fma_f64 v[2:3], v[20:21], s[14:15], v[2:3]
	v_fma_f64 v[24:25], v[24:25], -0.5, v[14:15]
	v_fma_f64 v[12:13], v[26:27], s[6:7], v[12:13]
	v_fma_f64 v[20:21], v[26:27], s[6:7], v[2:3]
	v_add_f64 v[26:27], v[50:51], -v[18:19]
	v_add_f64 v[2:3], v[14:15], v[46:47]
	v_fma_f64 v[18:19], v[26:27], s[10:11], v[24:25]
	v_fma_f64 v[24:25], v[26:27], s[2:3], v[24:25]
	v_add_f64 v[2:3], v[2:3], v[42:43]
	v_fma_f64 v[10:11], v[40:41], s[14:15], v[18:19]
	v_add_f64 v[18:19], v[46:47], -v[42:43]
	v_fma_f64 v[24:25], v[40:41], s[4:5], v[24:25]
	v_add_f64 v[2:3], v[2:3], v[38:39]
	v_add_f64 v[42:43], v[42:43], -v[46:47]
	v_add_f64 v[18:19], v[18:19], v[44:45]
	v_add_f64 v[2:3], v[2:3], v[22:23]
	v_fma_f64 v[10:11], v[18:19], s[6:7], v[10:11]
	v_fma_f64 v[18:19], v[18:19], s[6:7], v[24:25]
	v_add_f64 v[24:25], v[46:47], v[22:23]
	v_add_f64 v[22:23], v[38:39], -v[22:23]
	v_fma_f64 v[24:25], v[24:25], -0.5, v[14:15]
	v_add_f64 v[22:23], v[42:43], v[22:23]
	v_fma_f64 v[14:15], v[40:41], s[2:3], v[24:25]
	v_fma_f64 v[24:25], v[40:41], s[10:11], v[24:25]
	s_movk_i32 s2, 0xa0
	v_cmp_gt_u32_e64 s[2:3], s2, v28
	v_fma_f64 v[14:15], v[26:27], s[14:15], v[14:15]
	v_fma_f64 v[24:25], v[26:27], s[4:5], v[24:25]
                                        ; implicit-def: $vgpr26_vgpr27
	v_fma_f64 v[14:15], v[22:23], s[6:7], v[14:15]
	v_fma_f64 v[22:23], v[22:23], s[6:7], v[24:25]
	v_lshrrev_b32_e32 v24, 5, v28
	v_mul_u32_u24_e32 v24, 0xa0, v24
	v_or_b32_e32 v24, v24, v34
	v_lshl_add_u32 v24, v24, 4, 0
	ds_write_b128 v24, v[0:3]
	ds_write_b128 v24, v[8:11] offset:512
	ds_write_b128 v24, v[12:15] offset:1024
	;; [unrolled: 1-line block ×4, first 2 shown]
	s_waitcnt lgkmcnt(0)
	s_barrier
	s_and_saveexec_b64 s[4:5], s[2:3]
	s_cbranch_execz .LBB0_33
; %bb.32:
	ds_read_b128 v[0:3], v35
	ds_read_b128 v[8:11], v35 offset:2560
	ds_read_b128 v[12:15], v35 offset:5120
	;; [unrolled: 1-line block ×6, first 2 shown]
.LBB0_33:
	s_or_b64 exec, exec, s[4:5]
	s_waitcnt lgkmcnt(0)
	s_barrier
	s_and_saveexec_b64 s[4:5], s[2:3]
	s_cbranch_execz .LBB0_35
; %bb.34:
	v_add_u32_e32 v34, 0xffffff60, v28
	v_cndmask_b32_e64 v34, v34, v28, s[2:3]
	v_mul_i32_i24_e32 v38, 6, v34
	v_mov_b32_e32 v39, 0
	v_lshlrev_b64 v[38:39], 4, v[38:39]
	v_mov_b32_e32 v34, s9
	v_add_co_u32_e64 v54, s[2:3], s8, v38
	v_addc_co_u32_e64 v55, s[2:3], v34, v39, s[2:3]
	global_load_dwordx4 v[38:41], v[54:55], off offset:2560
	global_load_dwordx4 v[42:45], v[54:55], off offset:2576
	;; [unrolled: 1-line block ×4, first 2 shown]
	s_mov_b32 s16, 0x37e14327
	s_mov_b32 s10, 0xe976ee23
	;; [unrolled: 1-line block ×16, first 2 shown]
	s_waitcnt vmcnt(3)
	v_mul_f64 v[56:57], v[22:23], v[40:41]
	v_mul_f64 v[40:41], v[20:21], v[40:41]
	v_fma_f64 v[56:57], v[20:21], v[38:39], v[56:57]
	v_fma_f64 v[38:39], v[22:23], v[38:39], -v[40:41]
	s_waitcnt vmcnt(2)
	v_mul_f64 v[40:41], v[18:19], v[44:45]
	v_mul_f64 v[44:45], v[16:17], v[44:45]
	global_load_dwordx4 v[20:23], v[54:55], off offset:2528
	v_fma_f64 v[40:41], v[16:17], v[42:43], v[40:41]
	v_fma_f64 v[42:43], v[18:19], v[42:43], -v[44:45]
	global_load_dwordx4 v[16:19], v[54:55], off offset:2608
	s_waitcnt vmcnt(3)
	v_mul_f64 v[44:45], v[14:15], v[48:49]
	v_mul_f64 v[48:49], v[12:13], v[48:49]
	s_waitcnt vmcnt(2)
	v_mul_f64 v[54:55], v[6:7], v[52:53]
	v_fma_f64 v[12:13], v[12:13], v[46:47], v[44:45]
	v_fma_f64 v[14:15], v[14:15], v[46:47], -v[48:49]
	v_mul_f64 v[44:45], v[4:5], v[52:53]
	v_fma_f64 v[4:5], v[4:5], v[50:51], v[54:55]
	v_fma_f64 v[6:7], v[6:7], v[50:51], -v[44:45]
	v_add_f64 v[44:45], v[14:15], v[6:7]
	v_add_f64 v[6:7], v[14:15], -v[6:7]
	s_waitcnt vmcnt(1)
	v_mul_f64 v[46:47], v[10:11], v[22:23]
	v_mul_f64 v[22:23], v[8:9], v[22:23]
	s_waitcnt vmcnt(0)
	v_mul_f64 v[48:49], v[26:27], v[18:19]
	v_mul_f64 v[18:19], v[24:25], v[18:19]
	v_fma_f64 v[8:9], v[8:9], v[20:21], v[46:47]
	v_fma_f64 v[10:11], v[10:11], v[20:21], -v[22:23]
	v_add_f64 v[20:21], v[12:13], -v[4:5]
	v_add_f64 v[4:5], v[12:13], v[4:5]
	v_add_f64 v[12:13], v[42:43], -v[38:39]
	v_fma_f64 v[24:25], v[24:25], v[16:17], v[48:49]
	v_fma_f64 v[16:17], v[26:27], v[16:17], -v[18:19]
	v_add_f64 v[18:19], v[40:41], -v[56:57]
	v_add_f64 v[26:27], v[38:39], v[42:43]
	v_add_f64 v[40:41], v[56:57], v[40:41]
	v_add_f64 v[56:57], v[12:13], -v[6:7]
	v_add_f64 v[54:55], v[12:13], v[6:7]
	v_add_f64 v[22:23], v[8:9], -v[24:25]
	v_add_f64 v[46:47], v[10:11], v[16:17]
	v_add_f64 v[8:9], v[8:9], v[24:25]
	v_add_f64 v[10:11], v[10:11], -v[16:17]
	v_add_f64 v[14:15], v[18:19], v[20:21]
	v_add_f64 v[16:17], v[18:19], -v[20:21]
	v_add_f64 v[24:25], v[26:27], -v[44:45]
	;; [unrolled: 1-line block ×4, first 2 shown]
	v_add_f64 v[42:43], v[44:45], v[46:47]
	v_add_f64 v[52:53], v[4:5], v[8:9]
	v_add_f64 v[38:39], v[46:47], -v[26:27]
	v_add_f64 v[50:51], v[8:9], -v[40:41]
	;; [unrolled: 1-line block ×6, first 2 shown]
	v_add_f64 v[26:27], v[26:27], v[42:43]
	v_add_f64 v[40:41], v[40:41], v[52:53]
	;; [unrolled: 1-line block ×3, first 2 shown]
	v_mul_f64 v[22:23], v[38:39], s[16:17]
	v_mul_f64 v[42:43], v[50:51], s[16:17]
	v_add_f64 v[12:13], v[10:11], -v[12:13]
	v_mul_f64 v[14:15], v[16:17], s[10:11]
	v_mul_f64 v[38:39], v[48:49], s[14:15]
	;; [unrolled: 1-line block ×3, first 2 shown]
	v_add_f64 v[2:3], v[2:3], v[26:27]
	v_add_f64 v[0:1], v[0:1], v[40:41]
	v_mul_f64 v[50:51], v[20:21], s[20:21]
	v_mul_f64 v[52:53], v[6:7], s[20:21]
	;; [unrolled: 1-line block ×3, first 2 shown]
	v_fma_f64 v[24:25], v[24:25], s[14:15], v[22:23]
	v_fma_f64 v[48:49], v[48:49], s[14:15], v[42:43]
	v_fma_f64 v[22:23], v[44:45], s[22:23], -v[22:23]
	v_fma_f64 v[42:43], v[4:5], s[22:23], -v[42:43]
	s_mov_b32 s23, 0x3fe77f67
	v_add_f64 v[10:11], v[54:55], v[10:11]
	v_fma_f64 v[54:55], v[18:19], s[6:7], v[14:15]
	v_fma_f64 v[56:57], v[12:13], s[6:7], v[46:47]
	s_mov_b32 s7, 0x3fd5d0dc
	v_fma_f64 v[14:15], v[20:21], s[20:21], -v[14:15]
	v_fma_f64 v[20:21], v[26:27], s[18:19], v[2:3]
	v_fma_f64 v[4:5], v[4:5], s[22:23], -v[38:39]
	v_fma_f64 v[38:39], v[40:41], s[18:19], v[0:1]
	v_fma_f64 v[18:19], v[18:19], s[6:7], -v[50:51]
	v_fma_f64 v[12:13], v[12:13], s[6:7], -v[52:53]
	;; [unrolled: 1-line block ×4, first 2 shown]
	v_fma_f64 v[26:27], v[8:9], s[2:3], v[54:55]
	v_fma_f64 v[40:41], v[10:11], s[2:3], v[56:57]
	v_add_f64 v[24:25], v[24:25], v[20:21]
	v_add_f64 v[48:49], v[48:49], v[38:39]
	v_fma_f64 v[44:45], v[8:9], s[2:3], v[14:15]
	v_fma_f64 v[8:9], v[8:9], s[2:3], v[18:19]
	v_add_f64 v[22:23], v[22:23], v[20:21]
	v_fma_f64 v[50:51], v[10:11], s[2:3], v[12:13]
	v_add_f64 v[42:43], v[42:43], v[38:39]
	v_add_f64 v[16:17], v[16:17], v[20:21]
	v_fma_f64 v[46:47], v[10:11], s[2:3], v[6:7]
	v_add_f64 v[4:5], v[4:5], v[38:39]
	v_add_f64 v[6:7], v[26:27], v[24:25]
	v_add_f64 v[26:27], v[24:25], -v[26:27]
	v_add_f64 v[24:25], v[40:41], v[48:49]
	v_add_f64 v[10:11], v[8:9], v[22:23]
	v_add_f64 v[22:23], v[22:23], -v[8:9]
	v_add_f64 v[20:21], v[50:51], v[42:43]
	v_add_f64 v[14:15], v[16:17], -v[44:45]
	;; [unrolled: 2-line block ×4, first 2 shown]
	v_add_f64 v[4:5], v[48:49], -v[40:41]
	ds_write_b128 v35, v[0:3]
	ds_write_b128 v35, v[24:27] offset:2560
	ds_write_b128 v35, v[20:23] offset:5120
	ds_write_b128 v35, v[16:19] offset:7680
	ds_write_b128 v35, v[12:15] offset:10240
	ds_write_b128 v35, v[8:11] offset:12800
	ds_write_b128 v35, v[4:7] offset:15360
.LBB0_35:
	s_or_b64 exec, exec, s[4:5]
	s_waitcnt lgkmcnt(0)
	s_barrier
	ds_read_b128 v[0:3], v35
	s_add_u32 s6, s8, 0x45e0
	s_addc_u32 s7, s9, 0
	v_sub_u32_e32 v8, 0, v29
	v_cmp_ne_u32_e64 s[2:3], 0, v28
                                        ; implicit-def: $vgpr6_vgpr7
                                        ; implicit-def: $vgpr4_vgpr5
	s_and_saveexec_b64 s[4:5], s[2:3]
	s_xor_b64 s[4:5], exec, s[4:5]
	s_cbranch_execz .LBB0_37
; %bb.36:
	v_mov_b32_e32 v29, 0
	v_lshlrev_b64 v[4:5], 4, v[28:29]
	v_mov_b32_e32 v6, s7
	v_add_co_u32_e64 v4, s[2:3], s6, v4
	v_addc_co_u32_e64 v5, s[2:3], v6, v5, s[2:3]
	global_load_dwordx4 v[9:12], v[4:5], off
	ds_read_b128 v[4:7], v8 offset:17920
	s_waitcnt lgkmcnt(0)
	v_add_f64 v[13:14], v[0:1], -v[4:5]
	v_add_f64 v[15:16], v[2:3], v[6:7]
	v_add_f64 v[2:3], v[2:3], -v[6:7]
	v_add_f64 v[0:1], v[0:1], v[4:5]
	v_mul_f64 v[6:7], v[13:14], 0.5
	v_mul_f64 v[13:14], v[15:16], 0.5
	;; [unrolled: 1-line block ×3, first 2 shown]
	s_waitcnt vmcnt(0)
	v_mul_f64 v[4:5], v[6:7], v[11:12]
	v_fma_f64 v[15:16], v[13:14], v[11:12], v[2:3]
	v_fma_f64 v[2:3], v[13:14], v[11:12], -v[2:3]
	v_fma_f64 v[11:12], v[0:1], 0.5, v[4:5]
	v_fma_f64 v[0:1], v[0:1], 0.5, -v[4:5]
	v_fma_f64 v[15:16], -v[9:10], v[6:7], v[15:16]
	v_fma_f64 v[2:3], -v[9:10], v[6:7], v[2:3]
	ds_write_b64 v35, v[15:16] offset:8
	ds_write_b64 v8, v[2:3] offset:17928
	v_fma_f64 v[4:5], v[13:14], v[9:10], v[11:12]
	v_fma_f64 v[6:7], -v[13:14], v[9:10], v[0:1]
                                        ; implicit-def: $vgpr0_vgpr1
.LBB0_37:
	s_andn2_saveexec_b64 s[2:3], s[4:5]
	s_cbranch_execz .LBB0_39
; %bb.38:
	s_mov_b32 s4, 0
	s_mov_b32 s5, s4
	v_mov_b32_e32 v10, s5
	s_waitcnt lgkmcnt(0)
	v_add_f64 v[4:5], v[0:1], v[2:3]
	v_mov_b32_e32 v9, s4
	v_add_f64 v[6:7], v[0:1], -v[2:3]
	ds_write_b64 v35, v[9:10] offset:8
	ds_write_b64 v8, v[9:10] offset:17928
	v_mov_b32_e32 v2, 0
	ds_read_b64 v[0:1], v2 offset:8968
	s_waitcnt lgkmcnt(0)
	v_xor_b32_e32 v1, 0x80000000, v1
	ds_write_b64 v2, v[0:1] offset:8968
.LBB0_39:
	s_or_b64 exec, exec, s[2:3]
	v_mov_b32_e32 v34, 0
	s_waitcnt lgkmcnt(0)
	v_lshlrev_b64 v[0:1], 4, v[33:34]
	v_mov_b32_e32 v2, s7
	v_add_co_u32_e64 v0, s[2:3], s6, v0
	v_addc_co_u32_e64 v1, s[2:3], v2, v1, s[2:3]
	global_load_dwordx4 v[0:3], v[0:1], off
	ds_write_b64 v35, v[4:5]
	ds_write_b64 v8, v[6:7] offset:17920
	ds_read_b128 v[4:7], v37
	ds_read_b128 v[9:12], v8 offset:14336
	s_waitcnt lgkmcnt(0)
	v_add_f64 v[13:14], v[4:5], -v[9:10]
	v_add_f64 v[15:16], v[6:7], v[11:12]
	v_add_f64 v[6:7], v[6:7], -v[11:12]
	v_add_f64 v[4:5], v[4:5], v[9:10]
	v_mul_f64 v[11:12], v[13:14], 0.5
	v_mul_f64 v[13:14], v[15:16], 0.5
	v_mul_f64 v[6:7], v[6:7], 0.5
	s_waitcnt vmcnt(0)
	v_mul_f64 v[9:10], v[11:12], v[2:3]
	v_fma_f64 v[15:16], v[13:14], v[2:3], v[6:7]
	v_fma_f64 v[2:3], v[13:14], v[2:3], -v[6:7]
	v_fma_f64 v[6:7], v[4:5], 0.5, v[9:10]
	v_fma_f64 v[9:10], v[4:5], 0.5, -v[9:10]
	v_fma_f64 v[4:5], -v[0:1], v[11:12], v[15:16]
	v_fma_f64 v[11:12], -v[0:1], v[11:12], v[2:3]
	v_fma_f64 v[2:3], v[13:14], v[0:1], v[6:7]
	v_fma_f64 v[9:10], -v[13:14], v[0:1], v[9:10]
	ds_write_b128 v37, v[2:5]
	ds_write_b128 v8, v[9:12] offset:14336
	s_and_saveexec_b64 s[2:3], vcc
	s_cbranch_execz .LBB0_41
; %bb.40:
	v_mov_b32_e32 v33, v34
	v_lshlrev_b64 v[0:1], 4, v[32:33]
	v_mov_b32_e32 v2, s7
	v_add_co_u32_e32 v0, vcc, s6, v0
	v_addc_co_u32_e32 v1, vcc, v2, v1, vcc
	global_load_dwordx4 v[0:3], v[0:1], off
	ds_read_b128 v[4:7], v36
	ds_read_b128 v[9:12], v8 offset:10752
	s_waitcnt lgkmcnt(0)
	v_add_f64 v[13:14], v[4:5], -v[9:10]
	v_add_f64 v[15:16], v[6:7], v[11:12]
	v_add_f64 v[6:7], v[6:7], -v[11:12]
	v_add_f64 v[4:5], v[4:5], v[9:10]
	v_mul_f64 v[11:12], v[13:14], 0.5
	v_mul_f64 v[13:14], v[15:16], 0.5
	;; [unrolled: 1-line block ×3, first 2 shown]
	s_waitcnt vmcnt(0)
	v_mul_f64 v[9:10], v[11:12], v[2:3]
	v_fma_f64 v[15:16], v[13:14], v[2:3], v[6:7]
	v_fma_f64 v[2:3], v[13:14], v[2:3], -v[6:7]
	v_fma_f64 v[6:7], v[4:5], 0.5, v[9:10]
	v_fma_f64 v[9:10], v[4:5], 0.5, -v[9:10]
	v_fma_f64 v[4:5], -v[0:1], v[11:12], v[15:16]
	v_fma_f64 v[11:12], -v[0:1], v[11:12], v[2:3]
	v_fma_f64 v[2:3], v[13:14], v[0:1], v[6:7]
	v_fma_f64 v[9:10], -v[13:14], v[0:1], v[9:10]
	ds_write_b128 v36, v[2:5]
	ds_write_b128 v8, v[9:12] offset:10752
.LBB0_41:
	s_or_b64 exec, exec, s[2:3]
	s_waitcnt lgkmcnt(0)
	s_barrier
	s_and_saveexec_b64 s[2:3], s[0:1]
	s_cbranch_execz .LBB0_44
; %bb.42:
	v_mov_b32_e32 v29, 0
	ds_read_b128 v[2:5], v35
	ds_read_b128 v[6:9], v35 offset:3584
	v_mov_b32_e32 v0, s13
	v_add_co_u32_e32 v1, vcc, s12, v30
	v_lshlrev_b64 v[10:11], 4, v[28:29]
	v_addc_co_u32_e32 v0, vcc, v0, v31, vcc
	v_add_co_u32_e32 v10, vcc, v1, v10
	v_addc_co_u32_e32 v11, vcc, v0, v11, vcc
	s_waitcnt lgkmcnt(1)
	global_store_dwordx4 v[10:11], v[2:5], off
	s_waitcnt lgkmcnt(0)
	global_store_dwordx4 v[10:11], v[6:9], off offset:3584
	ds_read_b128 v[2:5], v35 offset:7168
	ds_read_b128 v[6:9], v35 offset:10752
	v_add_co_u32_e32 v12, vcc, 0x1000, v10
	v_addc_co_u32_e32 v13, vcc, 0, v11, vcc
	s_waitcnt lgkmcnt(1)
	global_store_dwordx4 v[12:13], v[2:5], off offset:3072
	s_movk_i32 s0, 0xdf
	v_add_co_u32_e32 v2, vcc, 0x2000, v10
	v_addc_co_u32_e32 v3, vcc, 0, v11, vcc
	s_waitcnt lgkmcnt(0)
	global_store_dwordx4 v[2:3], v[6:9], off offset:2560
	ds_read_b128 v[2:5], v35 offset:14336
	v_add_co_u32_e32 v6, vcc, 0x3000, v10
	v_addc_co_u32_e32 v7, vcc, 0, v11, vcc
	v_cmp_eq_u32_e32 vcc, s0, v28
	s_waitcnt lgkmcnt(0)
	global_store_dwordx4 v[6:7], v[2:5], off offset:2048
	s_and_b64 exec, exec, vcc
	s_cbranch_execz .LBB0_44
; %bb.43:
	ds_read_b128 v[2:5], v29 offset:17920
	v_add_co_u32_e32 v6, vcc, 0x4000, v1
	v_addc_co_u32_e32 v7, vcc, 0, v0, vcc
	s_waitcnt lgkmcnt(0)
	global_store_dwordx4 v[6:7], v[2:5], off offset:1536
.LBB0_44:
	s_endpgm
	.section	.rodata,"a",@progbits
	.p2align	6, 0x0
	.amdhsa_kernel fft_rtc_back_len1120_factors_2_2_2_2_2_5_7_wgs_224_tpt_224_halfLds_dp_ip_CI_unitstride_sbrr_R2C_dirReg
		.amdhsa_group_segment_fixed_size 0
		.amdhsa_private_segment_fixed_size 0
		.amdhsa_kernarg_size 88
		.amdhsa_user_sgpr_count 6
		.amdhsa_user_sgpr_private_segment_buffer 1
		.amdhsa_user_sgpr_dispatch_ptr 0
		.amdhsa_user_sgpr_queue_ptr 0
		.amdhsa_user_sgpr_kernarg_segment_ptr 1
		.amdhsa_user_sgpr_dispatch_id 0
		.amdhsa_user_sgpr_flat_scratch_init 0
		.amdhsa_user_sgpr_private_segment_size 0
		.amdhsa_uses_dynamic_stack 0
		.amdhsa_system_sgpr_private_segment_wavefront_offset 0
		.amdhsa_system_sgpr_workgroup_id_x 1
		.amdhsa_system_sgpr_workgroup_id_y 0
		.amdhsa_system_sgpr_workgroup_id_z 0
		.amdhsa_system_sgpr_workgroup_info 0
		.amdhsa_system_vgpr_workitem_id 0
		.amdhsa_next_free_vgpr 58
		.amdhsa_next_free_sgpr 24
		.amdhsa_reserve_vcc 1
		.amdhsa_reserve_flat_scratch 0
		.amdhsa_float_round_mode_32 0
		.amdhsa_float_round_mode_16_64 0
		.amdhsa_float_denorm_mode_32 3
		.amdhsa_float_denorm_mode_16_64 3
		.amdhsa_dx10_clamp 1
		.amdhsa_ieee_mode 1
		.amdhsa_fp16_overflow 0
		.amdhsa_exception_fp_ieee_invalid_op 0
		.amdhsa_exception_fp_denorm_src 0
		.amdhsa_exception_fp_ieee_div_zero 0
		.amdhsa_exception_fp_ieee_overflow 0
		.amdhsa_exception_fp_ieee_underflow 0
		.amdhsa_exception_fp_ieee_inexact 0
		.amdhsa_exception_int_div_zero 0
	.end_amdhsa_kernel
	.text
.Lfunc_end0:
	.size	fft_rtc_back_len1120_factors_2_2_2_2_2_5_7_wgs_224_tpt_224_halfLds_dp_ip_CI_unitstride_sbrr_R2C_dirReg, .Lfunc_end0-fft_rtc_back_len1120_factors_2_2_2_2_2_5_7_wgs_224_tpt_224_halfLds_dp_ip_CI_unitstride_sbrr_R2C_dirReg
                                        ; -- End function
	.section	.AMDGPU.csdata,"",@progbits
; Kernel info:
; codeLenInByte = 6368
; NumSgprs: 28
; NumVgprs: 58
; ScratchSize: 0
; MemoryBound: 0
; FloatMode: 240
; IeeeMode: 1
; LDSByteSize: 0 bytes/workgroup (compile time only)
; SGPRBlocks: 3
; VGPRBlocks: 14
; NumSGPRsForWavesPerEU: 28
; NumVGPRsForWavesPerEU: 58
; Occupancy: 4
; WaveLimiterHint : 1
; COMPUTE_PGM_RSRC2:SCRATCH_EN: 0
; COMPUTE_PGM_RSRC2:USER_SGPR: 6
; COMPUTE_PGM_RSRC2:TRAP_HANDLER: 0
; COMPUTE_PGM_RSRC2:TGID_X_EN: 1
; COMPUTE_PGM_RSRC2:TGID_Y_EN: 0
; COMPUTE_PGM_RSRC2:TGID_Z_EN: 0
; COMPUTE_PGM_RSRC2:TIDIG_COMP_CNT: 0
	.type	__hip_cuid_74f4a83825265d16,@object ; @__hip_cuid_74f4a83825265d16
	.section	.bss,"aw",@nobits
	.globl	__hip_cuid_74f4a83825265d16
__hip_cuid_74f4a83825265d16:
	.byte	0                               ; 0x0
	.size	__hip_cuid_74f4a83825265d16, 1

	.ident	"AMD clang version 19.0.0git (https://github.com/RadeonOpenCompute/llvm-project roc-6.4.0 25133 c7fe45cf4b819c5991fe208aaa96edf142730f1d)"
	.section	".note.GNU-stack","",@progbits
	.addrsig
	.addrsig_sym __hip_cuid_74f4a83825265d16
	.amdgpu_metadata
---
amdhsa.kernels:
  - .args:
      - .actual_access:  read_only
        .address_space:  global
        .offset:         0
        .size:           8
        .value_kind:     global_buffer
      - .offset:         8
        .size:           8
        .value_kind:     by_value
      - .actual_access:  read_only
        .address_space:  global
        .offset:         16
        .size:           8
        .value_kind:     global_buffer
      - .actual_access:  read_only
        .address_space:  global
        .offset:         24
        .size:           8
        .value_kind:     global_buffer
      - .offset:         32
        .size:           8
        .value_kind:     by_value
      - .actual_access:  read_only
        .address_space:  global
        .offset:         40
        .size:           8
        .value_kind:     global_buffer
      - .actual_access:  read_only
        .address_space:  global
        .offset:         48
        .size:           8
        .value_kind:     global_buffer
      - .offset:         56
        .size:           4
        .value_kind:     by_value
      - .actual_access:  read_only
        .address_space:  global
        .offset:         64
        .size:           8
        .value_kind:     global_buffer
      - .actual_access:  read_only
        .address_space:  global
        .offset:         72
        .size:           8
        .value_kind:     global_buffer
      - .address_space:  global
        .offset:         80
        .size:           8
        .value_kind:     global_buffer
    .group_segment_fixed_size: 0
    .kernarg_segment_align: 8
    .kernarg_segment_size: 88
    .language:       OpenCL C
    .language_version:
      - 2
      - 0
    .max_flat_workgroup_size: 224
    .name:           fft_rtc_back_len1120_factors_2_2_2_2_2_5_7_wgs_224_tpt_224_halfLds_dp_ip_CI_unitstride_sbrr_R2C_dirReg
    .private_segment_fixed_size: 0
    .sgpr_count:     28
    .sgpr_spill_count: 0
    .symbol:         fft_rtc_back_len1120_factors_2_2_2_2_2_5_7_wgs_224_tpt_224_halfLds_dp_ip_CI_unitstride_sbrr_R2C_dirReg.kd
    .uniform_work_group_size: 1
    .uses_dynamic_stack: false
    .vgpr_count:     58
    .vgpr_spill_count: 0
    .wavefront_size: 64
amdhsa.target:   amdgcn-amd-amdhsa--gfx906
amdhsa.version:
  - 1
  - 2
...

	.end_amdgpu_metadata
